;; amdgpu-corpus repo=ROCm/rocFFT kind=compiled arch=gfx950 opt=O3
	.text
	.amdgcn_target "amdgcn-amd-amdhsa--gfx950"
	.amdhsa_code_object_version 6
	.protected	fft_rtc_fwd_len220_factors_10_2_11_wgs_110_tpt_22_half_op_CI_CI_unitstride_sbrr_C2R_dirReg ; -- Begin function fft_rtc_fwd_len220_factors_10_2_11_wgs_110_tpt_22_half_op_CI_CI_unitstride_sbrr_C2R_dirReg
	.globl	fft_rtc_fwd_len220_factors_10_2_11_wgs_110_tpt_22_half_op_CI_CI_unitstride_sbrr_C2R_dirReg
	.p2align	8
	.type	fft_rtc_fwd_len220_factors_10_2_11_wgs_110_tpt_22_half_op_CI_CI_unitstride_sbrr_C2R_dirReg,@function
fft_rtc_fwd_len220_factors_10_2_11_wgs_110_tpt_22_half_op_CI_CI_unitstride_sbrr_C2R_dirReg: ; @fft_rtc_fwd_len220_factors_10_2_11_wgs_110_tpt_22_half_op_CI_CI_unitstride_sbrr_C2R_dirReg
; %bb.0:
	s_load_dwordx4 s[4:7], s[0:1], 0x58
	s_load_dwordx4 s[8:11], s[0:1], 0x0
	;; [unrolled: 1-line block ×3, first 2 shown]
	v_mul_u32_u24_e32 v1, 0xba3, v0
	v_lshrrev_b32_e32 v2, 16, v1
	v_mad_u64_u32 v[6:7], s[2:3], s2, 5, v[2:3]
	v_mov_b32_e32 v10, 0
	v_mov_b32_e32 v7, v10
	s_waitcnt lgkmcnt(0)
	v_cmp_lt_u64_e64 s[2:3], s[10:11], 2
	v_mov_b64_e32 v[8:9], 0
	s_and_b64 vcc, exec, s[2:3]
	v_mov_b64_e32 v[2:3], v[8:9]
	v_mov_b64_e32 v[4:5], v[6:7]
	s_cbranch_vccnz .LBB0_8
; %bb.1:
	s_load_dwordx2 s[2:3], s[0:1], 0x10
	s_add_u32 s16, s14, 8
	s_addc_u32 s17, s15, 0
	s_add_u32 s18, s12, 8
	s_addc_u32 s19, s13, 0
	s_waitcnt lgkmcnt(0)
	s_add_u32 s20, s2, 8
	v_mov_b64_e32 v[8:9], 0
	s_addc_u32 s21, s3, 0
	s_mov_b64 s[22:23], 1
	v_mov_b64_e32 v[2:3], v[8:9]
	v_mov_b64_e32 v[12:13], v[6:7]
.LBB0_2:                                ; =>This Inner Loop Header: Depth=1
	s_load_dwordx2 s[24:25], s[20:21], 0x0
                                        ; implicit-def: $vgpr4_vgpr5
	s_waitcnt lgkmcnt(0)
	v_or_b32_e32 v11, s25, v13
	v_cmp_ne_u64_e32 vcc, 0, v[10:11]
	s_and_saveexec_b64 s[2:3], vcc
	s_xor_b64 s[26:27], exec, s[2:3]
	s_cbranch_execz .LBB0_4
; %bb.3:                                ;   in Loop: Header=BB0_2 Depth=1
	v_cvt_f32_u32_e32 v1, s24
	v_cvt_f32_u32_e32 v4, s25
	s_sub_u32 s2, 0, s24
	s_subb_u32 s3, 0, s25
	v_fmac_f32_e32 v1, 0x4f800000, v4
	v_rcp_f32_e32 v1, v1
	s_nop 0
	v_mul_f32_e32 v1, 0x5f7ffffc, v1
	v_mul_f32_e32 v4, 0x2f800000, v1
	v_trunc_f32_e32 v4, v4
	v_fmac_f32_e32 v1, 0xcf800000, v4
	v_cvt_u32_f32_e32 v7, v4
	v_cvt_u32_f32_e32 v1, v1
	v_mul_lo_u32 v4, s2, v7
	v_mul_hi_u32 v11, s2, v1
	v_mul_lo_u32 v5, s3, v1
	v_add_u32_e32 v11, v11, v4
	v_mul_lo_u32 v16, s2, v1
	v_add_u32_e32 v11, v11, v5
	v_mul_hi_u32 v4, v1, v16
	v_mul_hi_u32 v15, v1, v11
	v_mul_lo_u32 v14, v1, v11
	v_mov_b32_e32 v5, v10
	v_lshl_add_u64 v[4:5], v[4:5], 0, v[14:15]
	v_mul_hi_u32 v15, v7, v16
	v_mul_lo_u32 v16, v7, v16
	v_add_co_u32_e32 v4, vcc, v4, v16
	v_mul_hi_u32 v14, v7, v11
	s_nop 0
	v_addc_co_u32_e32 v4, vcc, v5, v15, vcc
	v_mov_b32_e32 v5, v10
	s_nop 0
	v_addc_co_u32_e32 v15, vcc, 0, v14, vcc
	v_mul_lo_u32 v14, v7, v11
	v_lshl_add_u64 v[4:5], v[4:5], 0, v[14:15]
	v_add_co_u32_e32 v1, vcc, v1, v4
	v_mul_lo_u32 v14, s2, v1
	s_nop 0
	v_addc_co_u32_e32 v7, vcc, v7, v5, vcc
	v_mul_lo_u32 v4, s2, v7
	v_mul_hi_u32 v5, s2, v1
	v_add_u32_e32 v4, v5, v4
	v_mul_lo_u32 v5, s3, v1
	v_add_u32_e32 v11, v4, v5
	v_mul_hi_u32 v17, v7, v14
	v_mul_lo_u32 v18, v7, v14
	v_mul_hi_u32 v5, v1, v11
	v_mul_lo_u32 v4, v1, v11
	v_mul_hi_u32 v14, v1, v14
	v_mov_b32_e32 v15, v10
	v_lshl_add_u64 v[4:5], v[14:15], 0, v[4:5]
	v_add_co_u32_e32 v4, vcc, v4, v18
	v_mul_hi_u32 v16, v7, v11
	s_nop 0
	v_addc_co_u32_e32 v4, vcc, v5, v17, vcc
	v_mul_lo_u32 v14, v7, v11
	s_nop 0
	v_addc_co_u32_e32 v15, vcc, 0, v16, vcc
	v_mov_b32_e32 v5, v10
	v_lshl_add_u64 v[4:5], v[4:5], 0, v[14:15]
	v_add_co_u32_e32 v1, vcc, v1, v4
	v_mul_hi_u32 v14, v12, v1
	s_nop 0
	v_addc_co_u32_e32 v7, vcc, v7, v5, vcc
	v_mad_u64_u32 v[4:5], s[2:3], v12, v7, 0
	v_mov_b32_e32 v15, v10
	v_lshl_add_u64 v[4:5], v[14:15], 0, v[4:5]
	v_mad_u64_u32 v[16:17], s[2:3], v13, v1, 0
	v_add_co_u32_e32 v1, vcc, v4, v16
	v_mad_u64_u32 v[14:15], s[2:3], v13, v7, 0
	s_nop 0
	v_addc_co_u32_e32 v4, vcc, v5, v17, vcc
	v_mov_b32_e32 v5, v10
	s_nop 0
	v_addc_co_u32_e32 v15, vcc, 0, v15, vcc
	v_lshl_add_u64 v[4:5], v[4:5], 0, v[14:15]
	v_mul_lo_u32 v1, s25, v4
	v_mul_lo_u32 v7, s24, v5
	v_mad_u64_u32 v[14:15], s[2:3], s24, v4, 0
	v_add3_u32 v1, v15, v7, v1
	v_sub_u32_e32 v7, v13, v1
	v_mov_b32_e32 v11, s25
	v_sub_co_u32_e32 v18, vcc, v12, v14
	v_lshl_add_u64 v[16:17], v[4:5], 0, 1
	s_nop 0
	v_subb_co_u32_e64 v7, s[2:3], v7, v11, vcc
	v_subrev_co_u32_e64 v11, s[2:3], s24, v18
	v_subb_co_u32_e32 v1, vcc, v13, v1, vcc
	s_nop 0
	v_subbrev_co_u32_e64 v7, s[2:3], 0, v7, s[2:3]
	v_cmp_le_u32_e64 s[2:3], s25, v7
	v_cmp_le_u32_e32 vcc, s25, v1
	s_nop 0
	v_cndmask_b32_e64 v14, 0, -1, s[2:3]
	v_cmp_le_u32_e64 s[2:3], s24, v11
	s_nop 1
	v_cndmask_b32_e64 v11, 0, -1, s[2:3]
	v_cmp_eq_u32_e64 s[2:3], s25, v7
	s_nop 1
	v_cndmask_b32_e64 v7, v14, v11, s[2:3]
	v_lshl_add_u64 v[14:15], v[4:5], 0, 2
	v_cmp_ne_u32_e64 s[2:3], 0, v7
	v_cndmask_b32_e64 v11, 0, -1, vcc
	v_cmp_le_u32_e32 vcc, s24, v18
	v_cndmask_b32_e64 v7, v17, v15, s[2:3]
	s_nop 0
	v_cndmask_b32_e64 v15, 0, -1, vcc
	v_cmp_eq_u32_e32 vcc, s25, v1
	s_nop 1
	v_cndmask_b32_e32 v1, v11, v15, vcc
	v_cmp_ne_u32_e32 vcc, 0, v1
	v_cndmask_b32_e64 v1, v16, v14, s[2:3]
	s_nop 0
	v_cndmask_b32_e32 v5, v5, v7, vcc
	v_cndmask_b32_e32 v4, v4, v1, vcc
.LBB0_4:                                ;   in Loop: Header=BB0_2 Depth=1
	s_andn2_saveexec_b64 s[2:3], s[26:27]
	s_cbranch_execz .LBB0_6
; %bb.5:                                ;   in Loop: Header=BB0_2 Depth=1
	v_cvt_f32_u32_e32 v1, s24
	s_sub_i32 s26, 0, s24
	v_rcp_iflag_f32_e32 v1, v1
	s_nop 0
	v_mul_f32_e32 v1, 0x4f7ffffe, v1
	v_cvt_u32_f32_e32 v1, v1
	v_mul_lo_u32 v4, s26, v1
	v_mul_hi_u32 v4, v1, v4
	v_add_u32_e32 v1, v1, v4
	v_mul_hi_u32 v1, v12, v1
	v_mul_lo_u32 v4, v1, s24
	v_sub_u32_e32 v4, v12, v4
	v_add_u32_e32 v5, 1, v1
	v_subrev_u32_e32 v7, s24, v4
	v_cmp_le_u32_e32 vcc, s24, v4
	s_nop 1
	v_cndmask_b32_e32 v4, v4, v7, vcc
	v_cndmask_b32_e32 v1, v1, v5, vcc
	v_add_u32_e32 v5, 1, v1
	v_cmp_le_u32_e32 vcc, s24, v4
	s_nop 1
	v_cndmask_b32_e32 v4, v1, v5, vcc
	v_mov_b32_e32 v5, v10
.LBB0_6:                                ;   in Loop: Header=BB0_2 Depth=1
	s_or_b64 exec, exec, s[2:3]
	v_mad_u64_u32 v[14:15], s[2:3], v4, s24, 0
	s_load_dwordx2 s[2:3], s[18:19], 0x0
	s_add_u32 s22, s22, 1
	v_mul_lo_u32 v1, v5, s24
	v_mul_lo_u32 v7, v4, s25
	s_load_dwordx2 s[24:25], s[16:17], 0x0
	s_addc_u32 s23, s23, 0
	v_add3_u32 v1, v15, v7, v1
	v_sub_co_u32_e32 v7, vcc, v12, v14
	s_add_u32 s16, s16, 8
	s_nop 0
	v_subb_co_u32_e32 v1, vcc, v13, v1, vcc
	s_addc_u32 s17, s17, 0
	s_waitcnt lgkmcnt(0)
	v_mul_lo_u32 v11, s2, v1
	v_mul_lo_u32 v12, s3, v7
	v_mad_u64_u32 v[8:9], s[2:3], s2, v7, v[8:9]
	s_add_u32 s18, s18, 8
	v_add3_u32 v9, v12, v9, v11
	s_addc_u32 s19, s19, 0
	v_mov_b64_e32 v[12:13], s[10:11]
	v_mul_lo_u32 v1, s24, v1
	v_mul_lo_u32 v11, s25, v7
	v_mad_u64_u32 v[2:3], s[2:3], s24, v7, v[2:3]
	s_add_u32 s20, s20, 8
	v_cmp_ge_u64_e32 vcc, s[22:23], v[12:13]
	v_add3_u32 v3, v11, v3, v1
	s_addc_u32 s21, s21, 0
	s_cbranch_vccnz .LBB0_8
; %bb.7:                                ;   in Loop: Header=BB0_2 Depth=1
	v_mov_b64_e32 v[12:13], v[4:5]
	s_branch .LBB0_2
.LBB0_8:
	s_load_dwordx2 s[0:1], s[0:1], 0x28
	s_lshl_b64 s[16:17], s[10:11], 3
	s_mov_b32 s10, 0xcccccccd
	v_mul_hi_u32 v1, v6, s10
	v_lshrrev_b32_e32 v1, 2, v1
	s_add_u32 s2, s14, s16
	v_lshl_add_u32 v1, v1, 2, v1
	s_addc_u32 s3, s15, s17
	v_sub_u32_e32 v1, v6, v1
	s_waitcnt lgkmcnt(0)
	v_cmp_gt_u64_e32 vcc, s[0:1], v[4:5]
	v_cmp_le_u64_e64 s[0:1], s[0:1], v[4:5]
                                        ; implicit-def: $vgpr6
	s_and_saveexec_b64 s[10:11], s[0:1]
	s_xor_b64 s[0:1], exec, s[10:11]
; %bb.9:
	s_mov_b32 s10, 0xba2e8bb
	v_mul_hi_u32 v6, v0, s10
	v_mul_u32_u24_e32 v6, 22, v6
	v_sub_u32_e32 v6, v0, v6
                                        ; implicit-def: $vgpr0
                                        ; implicit-def: $vgpr8_vgpr9
; %bb.10:
	s_or_saveexec_b64 s[10:11], s[0:1]
	s_load_dwordx2 s[2:3], s[2:3], 0x0
	v_mul_u32_u24_e32 v7, 0xdd, v1
	v_lshlrev_b32_e32 v15, 2, v7
	s_xor_b64 exec, exec, s[10:11]
	s_cbranch_execz .LBB0_14
; %bb.11:
	s_add_u32 s0, s12, s16
	s_addc_u32 s1, s13, s17
	s_load_dwordx2 s[0:1], s[0:1], 0x0
	s_mov_b32 s12, 0xba2e8bb
	s_waitcnt lgkmcnt(0)
	v_mul_lo_u32 v1, s1, v4
	v_mul_lo_u32 v6, s0, v5
	v_mad_u64_u32 v[10:11], s[0:1], s0, v4, 0
	v_add3_u32 v11, v11, v6, v1
	v_mul_hi_u32 v1, v0, s12
	v_mul_u32_u24_e32 v1, 22, v1
	v_sub_u32_e32 v6, v0, v1
	v_lshl_add_u64 v[0:1], v[10:11], 2, s[4:5]
	v_lshl_add_u64 v[0:1], v[8:9], 2, v[0:1]
	v_lshlrev_b32_e32 v8, 2, v6
	v_mov_b32_e32 v9, 0
	v_lshl_add_u64 v[10:11], v[0:1], 0, v[8:9]
	global_load_dword v9, v[10:11], off
	global_load_dword v12, v[10:11], off offset:88
	global_load_dword v13, v[10:11], off offset:176
	;; [unrolled: 1-line block ×9, first 2 shown]
	v_add3_u32 v8, 0, v15, v8
	v_cmp_eq_u32_e64 s[0:1], 21, v6
	s_waitcnt vmcnt(8)
	ds_write2_b32 v8, v9, v12 offset1:22
	s_waitcnt vmcnt(6)
	ds_write2_b32 v8, v13, v14 offset0:44 offset1:66
	s_waitcnt vmcnt(4)
	ds_write2_b32 v8, v16, v17 offset0:88 offset1:110
	;; [unrolled: 2-line block ×4, first 2 shown]
	s_and_saveexec_b64 s[4:5], s[0:1]
	s_cbranch_execz .LBB0_13
; %bb.12:
	global_load_dword v0, v[0:1], off offset:880
	v_mov_b32_e32 v6, 21
	s_waitcnt vmcnt(0)
	ds_write_b32 v8, v0 offset:796
.LBB0_13:
	s_or_b64 exec, exec, s[4:5]
.LBB0_14:
	s_or_b64 exec, exec, s[10:11]
	v_lshl_add_u32 v16, v7, 2, 0
	v_lshlrev_b32_e32 v9, 2, v6
	v_add_u32_e32 v17, v16, v9
	s_waitcnt lgkmcnt(0)
	s_barrier
	v_sub_u32_e32 v8, v16, v9
	ds_read_u16 v12, v17
	ds_read_u16 v13, v8 offset:880
	v_cmp_ne_u32_e64 s[0:1], 0, v6
                                        ; implicit-def: $vgpr0_vgpr1
	s_waitcnt lgkmcnt(0)
	v_add_f16_e32 v10, v13, v12
	v_sub_f16_e32 v11, v12, v13
	s_and_saveexec_b64 s[4:5], s[0:1]
	s_xor_b64 s[0:1], exec, s[4:5]
	s_cbranch_execz .LBB0_16
; %bb.15:
	v_mov_b32_e32 v7, 0
	v_lshl_add_u64 v[0:1], v[6:7], 2, s[8:9]
	global_load_dword v0, v[0:1], off offset:840
	ds_read_u16 v1, v8 offset:882
	ds_read_u16 v10, v17 offset:2
	v_add_f16_e32 v11, v13, v12
	v_sub_f16_e32 v12, v12, v13
	s_waitcnt lgkmcnt(0)
	v_add_f16_e32 v13, v1, v10
	v_sub_f16_e32 v1, v10, v1
	s_waitcnt vmcnt(0)
	v_lshrrev_b32_e32 v10, 16, v0
	v_fma_f16 v14, v12, v10, v11
	v_fma_f16 v18, v13, v10, v1
	v_fma_f16 v19, -v12, v10, v11
	v_fma_f16 v1, v13, v10, -v1
	v_fma_f16 v10, -v0, v13, v14
	v_fma_f16 v11, v12, v0, v18
	v_fma_f16 v13, v0, v13, v19
	;; [unrolled: 1-line block ×3, first 2 shown]
	v_pack_b32_f16 v0, v13, v0
	ds_write_b32 v8, v0 offset:880
	v_mov_b64_e32 v[0:1], v[6:7]
.LBB0_16:
	s_andn2_saveexec_b64 s[0:1], s[0:1]
	s_cbranch_execz .LBB0_18
; %bb.17:
	ds_read_b32 v0, v16 offset:440
	s_mov_b32 s4, 0xc0004000
	s_waitcnt lgkmcnt(0)
	v_pk_mul_f16 v0, v0, s4
	ds_write_b32 v16, v0 offset:440
	v_mov_b64_e32 v[0:1], 0
.LBB0_18:
	s_or_b64 exec, exec, s[0:1]
	s_add_u32 s0, s8, 0x348
	s_addc_u32 s1, s9, 0
	v_lshl_add_u64 v[0:1], v[0:1], 2, s[0:1]
	global_load_dword v7, v[0:1], off offset:88
	global_load_dword v12, v[0:1], off offset:176
	;; [unrolled: 1-line block ×4, first 2 shown]
	s_mov_b32 s0, 0x5040100
	v_perm_b32 v0, v11, v10, s0
	ds_write_b32 v17, v0
	ds_read_b32 v0, v17 offset:88
	ds_read_b32 v1, v8 offset:792
	s_movk_i32 s0, 0x3b9c
	s_mov_b32 s5, 0xbb9c
	s_movk_i32 s1, 0x38b4
	s_mov_b32 s10, 0xb8b4
	s_waitcnt lgkmcnt(0)
	v_add_f16_e32 v10, v0, v1
	v_add_f16_sdwa v11, v1, v0 dst_sel:DWORD dst_unused:UNUSED_PAD src0_sel:WORD_1 src1_sel:WORD_1
	v_sub_f16_e32 v18, v0, v1
	v_sub_f16_sdwa v0, v0, v1 dst_sel:DWORD dst_unused:UNUSED_PAD src0_sel:WORD_1 src1_sel:WORD_1
	s_movk_i32 s4, 0x34f2
	s_movk_i32 s11, 0x3a79
	s_waitcnt vmcnt(3)
	v_lshrrev_b32_e32 v1, 16, v7
	v_fma_f16 v19, v18, v1, v10
	v_fma_f16 v20, v11, v1, v0
	v_fma_f16 v10, -v18, v1, v10
	v_fma_f16 v0, v11, v1, -v0
	v_fma_f16 v1, -v7, v11, v19
	v_fma_f16 v19, v18, v7, v20
	v_fma_f16 v10, v7, v11, v10
	;; [unrolled: 1-line block ×3, first 2 shown]
	v_pack_b32_f16 v1, v1, v19
	v_pack_b32_f16 v0, v10, v0
	ds_write_b32 v17, v1 offset:88
	ds_write_b32 v8, v0 offset:792
	ds_read_b32 v0, v17 offset:176
	ds_read_b32 v1, v8 offset:704
	s_waitcnt vmcnt(2)
	v_lshrrev_b32_e32 v7, 16, v12
	s_waitcnt lgkmcnt(0)
	v_add_f16_e32 v10, v0, v1
	v_add_f16_sdwa v11, v1, v0 dst_sel:DWORD dst_unused:UNUSED_PAD src0_sel:WORD_1 src1_sel:WORD_1
	v_sub_f16_e32 v18, v0, v1
	v_sub_f16_sdwa v0, v0, v1 dst_sel:DWORD dst_unused:UNUSED_PAD src0_sel:WORD_1 src1_sel:WORD_1
	v_fma_f16 v1, v18, v7, v10
	v_fma_f16 v19, v11, v7, v0
	v_fma_f16 v10, -v18, v7, v10
	v_fma_f16 v0, v11, v7, -v0
	v_fma_f16 v1, -v12, v11, v1
	v_fma_f16 v7, v18, v12, v19
	v_fma_f16 v10, v12, v11, v10
	;; [unrolled: 1-line block ×3, first 2 shown]
	v_pack_b32_f16 v1, v1, v7
	v_pack_b32_f16 v0, v10, v0
	ds_write_b32 v17, v1 offset:176
	ds_write_b32 v8, v0 offset:704
	ds_read_b32 v0, v17 offset:264
	ds_read_b32 v1, v8 offset:616
	v_add3_u32 v7, 0, v9, v15
	s_waitcnt vmcnt(1)
	v_lshrrev_b32_e32 v9, 16, v13
	s_waitcnt lgkmcnt(0)
	v_add_f16_e32 v10, v0, v1
	v_add_f16_sdwa v11, v1, v0 dst_sel:DWORD dst_unused:UNUSED_PAD src0_sel:WORD_1 src1_sel:WORD_1
	v_sub_f16_e32 v12, v0, v1
	v_sub_f16_sdwa v0, v0, v1 dst_sel:DWORD dst_unused:UNUSED_PAD src0_sel:WORD_1 src1_sel:WORD_1
	v_fma_f16 v1, v12, v9, v10
	v_fma_f16 v18, v11, v9, v0
	v_fma_f16 v10, -v12, v9, v10
	v_fma_f16 v0, v11, v9, -v0
	v_fma_f16 v1, -v13, v11, v1
	v_fma_f16 v9, v12, v13, v18
	v_fma_f16 v10, v13, v11, v10
	v_fma_f16 v0, v12, v13, v0
	v_pack_b32_f16 v1, v1, v9
	v_pack_b32_f16 v0, v10, v0
	ds_write_b32 v17, v1 offset:264
	ds_write_b32 v8, v0 offset:616
	ds_read_b32 v0, v17 offset:352
	ds_read_b32 v1, v8 offset:528
	s_waitcnt vmcnt(0)
	v_lshrrev_b32_e32 v9, 16, v14
	s_waitcnt lgkmcnt(0)
	v_add_f16_e32 v10, v0, v1
	v_add_f16_sdwa v11, v1, v0 dst_sel:DWORD dst_unused:UNUSED_PAD src0_sel:WORD_1 src1_sel:WORD_1
	v_sub_f16_e32 v12, v0, v1
	v_sub_f16_sdwa v0, v0, v1 dst_sel:DWORD dst_unused:UNUSED_PAD src0_sel:WORD_1 src1_sel:WORD_1
	v_fma_f16 v1, v12, v9, v10
	v_fma_f16 v13, v11, v9, v0
	v_fma_f16 v10, -v12, v9, v10
	v_fma_f16 v0, v11, v9, -v0
	v_fma_f16 v1, -v14, v11, v1
	v_fma_f16 v9, v12, v14, v13
	v_fma_f16 v10, v14, v11, v10
	v_fma_f16 v0, v12, v14, v0
	v_pack_b32_f16 v1, v1, v9
	v_pack_b32_f16 v0, v10, v0
	ds_write_b32 v17, v1 offset:352
	ds_write_b32 v8, v0 offset:528
	s_waitcnt lgkmcnt(0)
	s_barrier
	s_barrier
	ds_read2_b32 v[0:1], v7 offset0:22 offset1:44
	ds_read2_b32 v[8:9], v7 offset0:66 offset1:88
	;; [unrolled: 1-line block ×4, first 2 shown]
	ds_read_b32 v18, v17
	ds_read_b32 v19, v7 offset:792
	v_mad_u32_u24 v14, v6, 36, v7
	s_waitcnt lgkmcnt(4)
	v_sub_f16_e32 v24, v1, v9
	s_waitcnt lgkmcnt(3)
	v_add_f16_e32 v20, v9, v11
	s_waitcnt lgkmcnt(2)
	v_sub_f16_sdwa v21, v1, v13 dst_sel:DWORD dst_unused:UNUSED_PAD src0_sel:WORD_1 src1_sel:WORD_1
	v_sub_f16_e32 v23, v13, v11
	v_add_f16_e32 v25, v1, v13
	v_sub_f16_e32 v26, v11, v13
	v_sub_f16_e32 v27, v9, v1
	s_waitcnt lgkmcnt(1)
	v_fma_f16 v20, v20, -0.5, v18
	v_sub_f16_sdwa v22, v9, v11 dst_sel:DWORD dst_unused:UNUSED_PAD src0_sel:WORD_1 src1_sel:WORD_1
	v_add_f16_e32 v23, v24, v23
	v_fma_f16 v24, v25, -0.5, v18
	v_add_f16_e32 v25, v27, v26
	v_fma_f16 v26, v21, s0, v20
	v_fma_f16 v20, v21, s5, v20
	;; [unrolled: 1-line block ×10, first 2 shown]
	v_pk_add_f16 v23, v18, v1
	v_add_f16_sdwa v24, v9, v11 dst_sel:DWORD dst_unused:UNUSED_PAD src0_sel:WORD_1 src1_sel:WORD_1
	v_lshrrev_b32_e32 v18, 16, v18
	v_fma_f16 v22, v25, s4, v22
	v_fma_f16 v21, v25, s4, v21
	v_fma_f16 v24, v24, -0.5, v18
	v_sub_f16_e32 v25, v1, v13
	v_fma_f16 v27, v25, s5, v24
	v_sub_f16_e32 v28, v9, v11
	v_sub_f16_sdwa v29, v1, v9 dst_sel:DWORD dst_unused:UNUSED_PAD src0_sel:WORD_1 src1_sel:WORD_1
	v_sub_f16_sdwa v30, v13, v11 dst_sel:DWORD dst_unused:UNUSED_PAD src0_sel:WORD_1 src1_sel:WORD_1
	v_fma_f16 v24, v25, s0, v24
	v_fma_f16 v27, v28, s10, v27
	v_add_f16_e32 v29, v29, v30
	v_fma_f16 v24, v28, s1, v24
	v_fma_f16 v27, v29, s4, v27
	;; [unrolled: 1-line block ×3, first 2 shown]
	v_add_f16_sdwa v29, v1, v13 dst_sel:DWORD dst_unused:UNUSED_PAD src0_sel:WORD_1 src1_sel:WORD_1
	v_pk_add_f16 v23, v23, v9
	v_fma_f16 v18, v29, -0.5, v18
	v_pk_add_f16 v23, v23, v11
	v_fma_f16 v29, v28, s0, v18
	v_sub_f16_sdwa v1, v9, v1 dst_sel:DWORD dst_unused:UNUSED_PAD src0_sel:WORD_1 src1_sel:WORD_1
	v_sub_f16_sdwa v9, v11, v13 dst_sel:DWORD dst_unused:UNUSED_PAD src0_sel:WORD_1 src1_sel:WORD_1
	v_fma_f16 v11, v28, s5, v18
	v_fma_f16 v29, v25, s10, v29
	v_add_f16_e32 v1, v1, v9
	v_fma_f16 v11, v25, s1, v11
	v_fma_f16 v9, v1, s4, v29
	;; [unrolled: 1-line block ×3, first 2 shown]
	v_add_f16_e32 v11, v10, v12
	v_pk_add_f16 v23, v23, v13
	v_fma_f16 v11, v11, -0.5, v0
	s_waitcnt lgkmcnt(0)
	v_sub_f16_sdwa v13, v8, v19 dst_sel:DWORD dst_unused:UNUSED_PAD src0_sel:WORD_1 src1_sel:WORD_1
	v_fma_f16 v18, v13, s0, v11
	v_sub_f16_sdwa v25, v10, v12 dst_sel:DWORD dst_unused:UNUSED_PAD src0_sel:WORD_1 src1_sel:WORD_1
	v_sub_f16_e32 v28, v19, v12
	v_sub_f16_e32 v29, v8, v10
	v_fma_f16 v11, v13, s5, v11
	v_fma_f16 v18, v25, s1, v18
	v_add_f16_e32 v28, v29, v28
	v_fma_f16 v11, v25, s10, v11
	v_fma_f16 v18, v28, s4, v18
	v_fma_f16 v11, v28, s4, v11
	v_add_f16_e32 v28, v8, v19
	v_fma_f16 v28, v28, -0.5, v0
	v_fma_f16 v29, v25, s5, v28
	v_sub_f16_e32 v30, v12, v19
	v_sub_f16_e32 v31, v10, v8
	v_fma_f16 v25, v25, s0, v28
	v_fma_f16 v29, v13, s1, v29
	v_add_f16_e32 v30, v31, v30
	v_fma_f16 v13, v13, s10, v25
	v_pk_add_f16 v25, v0, v8
	v_add_f16_sdwa v28, v10, v12 dst_sel:DWORD dst_unused:UNUSED_PAD src0_sel:WORD_1 src1_sel:WORD_1
	v_lshrrev_b32_e32 v0, 16, v0
	v_fma_f16 v29, v30, s4, v29
	v_fma_f16 v13, v30, s4, v13
	v_fma_f16 v28, v28, -0.5, v0
	v_sub_f16_e32 v30, v8, v19
	v_fma_f16 v31, v30, s5, v28
	v_sub_f16_e32 v32, v10, v12
	v_sub_f16_sdwa v33, v8, v10 dst_sel:DWORD dst_unused:UNUSED_PAD src0_sel:WORD_1 src1_sel:WORD_1
	v_sub_f16_sdwa v34, v19, v12 dst_sel:DWORD dst_unused:UNUSED_PAD src0_sel:WORD_1 src1_sel:WORD_1
	v_fma_f16 v28, v30, s0, v28
	v_fma_f16 v31, v32, s10, v31
	v_add_f16_e32 v33, v33, v34
	v_fma_f16 v28, v32, s1, v28
	v_fma_f16 v31, v33, s4, v31
	;; [unrolled: 1-line block ×3, first 2 shown]
	v_add_f16_sdwa v33, v8, v19 dst_sel:DWORD dst_unused:UNUSED_PAD src0_sel:WORD_1 src1_sel:WORD_1
	v_fma_f16 v0, v33, -0.5, v0
	v_pk_add_f16 v25, v25, v10
	v_fma_f16 v33, v32, s0, v0
	v_sub_f16_sdwa v8, v10, v8 dst_sel:DWORD dst_unused:UNUSED_PAD src0_sel:WORD_1 src1_sel:WORD_1
	v_sub_f16_sdwa v10, v12, v19 dst_sel:DWORD dst_unused:UNUSED_PAD src0_sel:WORD_1 src1_sel:WORD_1
	v_fma_f16 v0, v32, s5, v0
	v_add_f16_e32 v8, v8, v10
	v_fma_f16 v0, v30, s1, v0
	v_fma_f16 v33, v30, s10, v33
	;; [unrolled: 1-line block ×3, first 2 shown]
	v_mul_f16_e32 v32, 0x34f2, v13
	v_mul_f16_e32 v34, 0x3a79, v11
	v_pk_add_f16 v25, v25, v12
	v_fma_f16 v10, v8, s4, v33
	v_fma_f16 v32, v0, s0, -v32
	v_fma_f16 v34, v28, s1, -v34
	v_mul_f16_e32 v0, 0x34f2, v0
	v_mul_f16_e32 v28, 0x3a79, v28
	v_pk_add_f16 v25, v25, v19
	v_mul_f16_e32 v19, 0x3b9c, v10
	v_fma_f16 v0, v13, s5, -v0
	v_fma_f16 v11, v11, s10, -v28
	v_mul_f16_e32 v8, 0x3a79, v18
	v_fma_f16 v19, v29, s4, v19
	v_add_f16_e32 v33, v21, v32
	v_add_f16_e32 v35, v20, v34
	v_mul_f16_e32 v18, 0xb8b4, v18
	v_mul_f16_e32 v29, 0xbb9c, v29
	v_add_f16_e32 v13, v1, v0
	v_sub_f16_e32 v21, v21, v32
	v_sub_f16_e32 v20, v20, v34
	;; [unrolled: 1-line block ×4, first 2 shown]
	v_fma_f16 v8, v31, s1, v8
	v_fma_f16 v18, v31, s11, v18
	;; [unrolled: 1-line block ×3, first 2 shown]
	v_pack_b32_f16 v1, v20, v1
	v_pack_b32_f16 v0, v21, v0
	s_movk_i32 s0, 0xcd
	v_add_f16_e32 v12, v26, v8
	v_add_f16_e32 v30, v22, v19
	;; [unrolled: 1-line block ×4, first 2 shown]
	v_sub_f16_e32 v8, v26, v8
	v_sub_f16_e32 v19, v22, v19
	;; [unrolled: 1-line block ×4, first 2 shown]
	s_barrier
	ds_write2_b32 v14, v0, v1 offset0:8 offset1:9
	v_mul_lo_u16_sdwa v0, v6, s0 dst_sel:DWORD dst_unused:UNUSED_PAD src0_sel:BYTE_0 src1_sel:DWORD
	v_pack_b32_f16 v8, v8, v18
	v_pack_b32_f16 v9, v19, v9
	v_lshrrev_b16_e32 v19, 11, v0
	v_add_u16_e32 v1, 22, v6
	v_pk_add_f16 v36, v23, v25
	v_pack_b32_f16 v10, v12, v31
	ds_write2_b32 v14, v8, v9 offset0:6 offset1:7
	v_mul_lo_u16_e32 v0, 10, v19
	v_mul_lo_u16_sdwa v8, v1, s0 dst_sel:DWORD dst_unused:UNUSED_PAD src0_sel:BYTE_0 src1_sel:DWORD
	v_add_f16_e32 v28, v24, v11
	ds_write2_b32 v14, v36, v10 offset1:1
	v_pack_b32_f16 v10, v33, v13
	v_pack_b32_f16 v11, v30, v29
	v_sub_u16_e32 v0, v6, v0
	v_lshrrev_b16_e32 v22, 11, v8
	v_mov_b32_e32 v8, 2
	ds_write2_b32 v14, v11, v10 offset0:2 offset1:3
	v_pk_add_f16 v10, v23, v25 neg_lo:[0,1] neg_hi:[0,1]
	v_lshlrev_b32_sdwa v23, v8, v0 dst_sel:DWORD dst_unused:UNUSED_PAD src0_sel:DWORD src1_sel:BYTE_0
	v_mul_lo_u16_e32 v0, 10, v22
	v_pack_b32_f16 v11, v35, v28
	v_sub_u16_e32 v0, v1, v0
	v_add_u16_e32 v1, 44, v6
	ds_write2_b32 v14, v11, v10 offset0:4 offset1:5
	v_mul_lo_u16_sdwa v10, v1, s0 dst_sel:DWORD dst_unused:UNUSED_PAD src0_sel:BYTE_0 src1_sel:DWORD
	s_waitcnt lgkmcnt(0)
	s_barrier
	global_load_dword v9, v23, s[8:9]
	v_lshrrev_b16_e32 v24, 11, v10
	v_lshlrev_b32_sdwa v25, v8, v0 dst_sel:DWORD dst_unused:UNUSED_PAD src0_sel:DWORD src1_sel:BYTE_0
	global_load_dword v14, v25, s[8:9]
	v_mul_lo_u16_e32 v0, 10, v24
	v_sub_u16_e32 v0, v1, v0
	v_add_u16_e32 v1, 0x42, v6
	v_mul_lo_u16_sdwa v10, v1, s0 dst_sel:DWORD dst_unused:UNUSED_PAD src0_sel:BYTE_0 src1_sel:DWORD
	v_lshrrev_b16_e32 v28, 11, v10
	v_lshlrev_b32_sdwa v26, v8, v0 dst_sel:DWORD dst_unused:UNUSED_PAD src0_sel:DWORD src1_sel:BYTE_0
	global_load_dword v27, v26, s[8:9]
	v_mul_lo_u16_e32 v0, 10, v28
	v_sub_u16_e32 v0, v1, v0
	v_add_u16_e32 v1, 0x58, v6
	v_lshlrev_b32_sdwa v29, v8, v0 dst_sel:DWORD dst_unused:UNUSED_PAD src0_sel:DWORD src1_sel:BYTE_0
	global_load_dword v30, v29, s[8:9]
	v_mul_lo_u16_sdwa v0, v1, s0 dst_sel:DWORD dst_unused:UNUSED_PAD src0_sel:BYTE_0 src1_sel:DWORD
	v_lshrrev_b16_e32 v31, 11, v0
	v_mul_lo_u16_e32 v0, 10, v31
	v_sub_u16_e32 v0, v1, v0
	v_lshlrev_b32_sdwa v32, v8, v0 dst_sel:DWORD dst_unused:UNUSED_PAD src0_sel:DWORD src1_sel:BYTE_0
	global_load_dword v33, v32, s[8:9]
	ds_read2_b32 v[0:1], v7 offset0:110 offset1:132
	ds_read2_b32 v[10:11], v7 offset0:22 offset1:44
	;; [unrolled: 1-line block ×4, first 2 shown]
	ds_read_b32 v8, v17
	ds_read_b32 v34, v7 offset:792
	s_mov_b32 s0, 0xffff
	s_waitcnt lgkmcnt(0)
	s_barrier
	s_waitcnt vmcnt(4)
	v_pk_mul_f16 v18, v9, v0 op_sel:[0,1]
	s_nop 0
	v_pk_fma_f16 v35, v9, v0, v18 op_sel:[0,0,1] op_sel_hi:[1,0,0]
	v_pk_fma_f16 v0, v9, v0, v18 op_sel:[0,0,1] op_sel_hi:[1,0,0] neg_lo:[0,0,1] neg_hi:[0,0,1]
	s_nop 0
	v_bfi_b32 v0, s0, v0, v35
	v_pk_add_f16 v35, v8, v0 neg_lo:[0,1] neg_hi:[0,1]
	s_waitcnt vmcnt(3)
	v_pk_mul_f16 v0, v14, v1 op_sel:[0,1]
	v_pk_fma_f16 v18, v8, 2.0, v35 op_sel_hi:[1,0,1] neg_lo:[0,0,1] neg_hi:[0,0,1]
	v_pk_fma_f16 v8, v14, v1, v0 op_sel:[0,0,1] op_sel_hi:[1,0,0]
	v_pk_fma_f16 v0, v14, v1, v0 op_sel:[0,0,1] op_sel_hi:[1,0,0] neg_lo:[0,0,1] neg_hi:[0,0,1]
	s_nop 0
	v_bfi_b32 v0, s0, v0, v8
	v_pk_add_f16 v8, v10, v0 neg_lo:[0,1] neg_hi:[0,1]
	s_waitcnt vmcnt(2)
	v_pk_mul_f16 v0, v27, v12 op_sel:[0,1]
	v_pk_fma_f16 v1, v10, 2.0, v8 op_sel_hi:[1,0,1] neg_lo:[0,0,1] neg_hi:[0,0,1]
	;; [unrolled: 8-line block ×4, first 2 shown]
	v_pk_fma_f16 v13, v33, v34, v0 op_sel:[0,0,1] op_sel_hi:[1,0,0]
	v_pk_fma_f16 v0, v33, v34, v0 op_sel:[0,0,1] op_sel_hi:[1,0,0] neg_lo:[0,0,1] neg_hi:[0,0,1]
                                        ; implicit-def: $vgpr20
	s_nop 0
	v_bfi_b32 v0, s0, v0, v13
	s_movk_i32 s0, 0x50
	v_pk_add_f16 v14, v21, v0 neg_lo:[0,1] neg_hi:[0,1]
	v_mad_u32_u24 v0, v19, s0, 0
	v_add3_u32 v19, v0, v23, v15
	ds_write2_b32 v19, v18, v35 offset1:10
	v_mad_u32_u24 v19, v22, s0, 0
	v_add3_u32 v19, v19, v25, v15
	ds_write2_b32 v19, v1, v8 offset1:10
	;; [unrolled: 3-line block ×4, first 2 shown]
	v_mad_u32_u24 v19, v31, s0, 0
	v_pk_fma_f16 v13, v21, 2.0, v14 op_sel_hi:[1,0,1] neg_lo:[0,0,1] neg_hi:[0,0,1]
	v_alignbit_b32 v0, v35, v35, 16
	v_add3_u32 v15, v19, v32, v15
	v_cmp_gt_u32_e64 s[0:1], 20, v6
	v_lshrrev_b32_e32 v19, 16, v14
	ds_write2_b32 v15, v13, v14 offset1:10
	s_waitcnt lgkmcnt(0)
	s_barrier
	s_and_saveexec_b64 s[4:5], s[0:1]
	s_cbranch_execz .LBB0_20
; %bb.19:
	ds_read_b32 v18, v17
	ds_read2_b32 v[0:1], v7 offset0:20 offset1:40
	ds_read2_b32 v[14:15], v7 offset0:180 offset1:200
	;; [unrolled: 1-line block ×5, first 2 shown]
	s_waitcnt lgkmcnt(4)
	v_alignbit_b32 v0, v0, v0, 16
	s_waitcnt lgkmcnt(3)
	v_lshrrev_b32_e32 v19, 16, v14
	v_lshrrev_b32_e32 v20, 16, v15
.LBB0_20:
	s_or_b64 exec, exec, s[4:5]
	s_waitcnt lgkmcnt(0)
	s_barrier
	s_and_saveexec_b64 s[4:5], s[0:1]
	s_cbranch_execz .LBB0_22
; %bb.21:
	v_subrev_u32_e32 v21, 20, v6
	v_cndmask_b32_e64 v21, v21, v6, s[0:1]
	v_mul_i32_i24_e32 v22, 10, v21
	v_mov_b32_e32 v23, 0
	v_lshl_add_u64 v[30:31], v[22:23], 2, s[8:9]
	global_load_dwordx2 v[32:33], v[30:31], off offset:72
	global_load_dwordx4 v[22:25], v[30:31], off offset:40
	global_load_dwordx4 v[26:29], v[30:31], off offset:56
	v_lshrrev_b32_e32 v21, 16, v0
	v_lshrrev_b32_e32 v34, 16, v8
	v_lshrrev_b32_e32 v35, 16, v12
	v_lshrrev_b32_e32 v38, 16, v10
	v_lshrrev_b32_e32 v30, 16, v1
	v_lshrrev_b32_e32 v31, 16, v13
	v_lshrrev_b32_e32 v36, 16, v9
	v_lshrrev_b32_e32 v37, 16, v11
	s_movk_i32 s11, 0x3b47
	s_movk_i32 s15, 0x3a0c
	s_mov_b32 s12, 0xb482
	s_mov_b32 s13, 0xbbeb
	s_mov_b32 s14, 0xb853
	s_movk_i32 s0, 0x36a6
	s_mov_b32 s1, 0xb93d
	s_mov_b32 s8, 0xbbad
	s_mov_b32 s9, 0xb08e
	s_movk_i32 s10, 0x3abb
	s_movk_i32 s16, 0x3beb
	s_mov_b32 s17, 0xbb47
	s_movk_i32 s18, 0x3853
	s_movk_i32 s19, 0x3482
	s_waitcnt vmcnt(2)
	v_mul_f16_sdwa v39, v15, v33 dst_sel:DWORD dst_unused:UNUSED_PAD src0_sel:DWORD src1_sel:WORD_1
	s_waitcnt vmcnt(1)
	v_mul_f16_sdwa v40, v21, v22 dst_sel:DWORD dst_unused:UNUSED_PAD src0_sel:DWORD src1_sel:WORD_1
	v_mul_f16_sdwa v41, v0, v22 dst_sel:DWORD dst_unused:UNUSED_PAD src0_sel:DWORD src1_sel:WORD_1
	;; [unrolled: 1-line block ×7, first 2 shown]
	s_waitcnt vmcnt(0)
	v_mul_f16_sdwa v51, v12, v28 dst_sel:DWORD dst_unused:UNUSED_PAD src0_sel:DWORD src1_sel:WORD_1
	v_mul_f16_sdwa v54, v35, v28 dst_sel:DWORD dst_unused:UNUSED_PAD src0_sel:DWORD src1_sel:WORD_1
	v_mul_f16_sdwa v56, v10, v26 dst_sel:DWORD dst_unused:UNUSED_PAD src0_sel:DWORD src1_sel:WORD_1
	v_mul_f16_sdwa v57, v38, v26 dst_sel:DWORD dst_unused:UNUSED_PAD src0_sel:DWORD src1_sel:WORD_1
	v_fma_f16 v20, v20, v33, v39
	v_fma_f16 v0, v0, v22, v40
	v_mul_f16_sdwa v45, v30, v23 dst_sel:DWORD dst_unused:UNUSED_PAD src0_sel:DWORD src1_sel:WORD_1
	v_mul_f16_sdwa v46, v19, v32 dst_sel:DWORD dst_unused:UNUSED_PAD src0_sel:DWORD src1_sel:WORD_1
	;; [unrolled: 1-line block ×8, first 2 shown]
	v_fma_f16 v21, v21, v22, -v41
	v_fma_f16 v15, v15, v33, -v42
	v_fma_f16 v19, v19, v32, v43
	v_fma_f16 v22, v30, v23, v44
	v_fma_f16 v30, v34, v24, v48
	v_fma_f16 v8, v8, v24, -v49
	v_fma_f16 v24, v35, v28, v51
	v_fma_f16 v12, v12, v28, -v54
	v_fma_f16 v28, v38, v26, v56
	v_fma_f16 v10, v10, v26, -v57
	v_add_f16_e32 v26, v0, v20
	v_fma_f16 v1, v1, v23, -v45
	v_fma_f16 v14, v14, v32, -v46
	v_fma_f16 v23, v31, v29, v47
	v_fma_f16 v13, v13, v29, -v50
	v_fma_f16 v29, v36, v25, v52
	;; [unrolled: 2-line block ×3, first 2 shown]
	v_fma_f16 v11, v11, v27, -v58
	v_sub_f16_e32 v27, v21, v15
	v_add_f16_e32 v31, v22, v19
	v_mul_f16_e32 v41, 0x36a6, v26
	v_sub_f16_e32 v32, v1, v14
	v_add_f16_e32 v33, v30, v23
	v_mul_f16_e32 v42, 0xb93d, v31
	v_fma_f16 v47, v27, s11, v41
	v_sub_f16_e32 v34, v8, v13
	v_add_f16_e32 v35, v29, v24
	v_mul_f16_e32 v43, 0xbbad, v33
	v_fma_f16 v48, v32, s15, v42
	v_add_f16_sdwa v47, v18, v47 dst_sel:DWORD dst_unused:UNUSED_PAD src0_sel:WORD_1 src1_sel:DWORD
	v_sub_f16_e32 v36, v9, v12
	v_add_f16_e32 v37, v28, v25
	v_mul_f16_e32 v44, 0xb08e, v35
	v_fma_f16 v49, v34, s12, v43
	v_add_f16_e32 v47, v48, v47
	v_sub_f16_e32 v38, v10, v11
	v_sub_f16_e32 v40, v0, v20
	v_mul_f16_e32 v45, 0x3abb, v37
	v_fma_f16 v50, v36, s13, v44
	v_add_f16_e32 v47, v49, v47
	v_add_f16_e32 v39, v21, v15
	v_mul_f16_e32 v46, 0xbb47, v40
	v_fma_f16 v51, v38, s14, v45
	v_add_f16_e32 v47, v50, v47
	v_sub_f16_e32 v50, v22, v19
	v_add_f16_e32 v47, v51, v47
	v_fma_f16 v48, v39, s0, v46
	v_add_f16_e32 v49, v1, v14
	v_mul_f16_e32 v51, 0xba0c, v50
	v_add_f16_e32 v48, v18, v48
	v_fma_f16 v52, v49, s1, v51
	v_sub_f16_e32 v53, v30, v23
	v_add_f16_e32 v48, v52, v48
	v_add_f16_e32 v52, v8, v13
	v_mul_f16_e32 v54, 0x3482, v53
	v_fma_f16 v55, v52, s8, v54
	v_sub_f16_e32 v56, v29, v24
	v_add_f16_e32 v48, v55, v48
	v_add_f16_e32 v55, v9, v12
	v_mul_f16_e32 v57, 0x3beb, v56
	v_fma_f16 v58, v55, s9, v57
	v_sub_f16_e32 v59, v28, v25
	v_add_f16_e32 v48, v58, v48
	v_add_f16_e32 v58, v10, v11
	v_mul_f16_e32 v60, 0x3853, v59
	v_fma_f16 v61, v58, s10, v60
	v_add_f16_e32 v48, v61, v48
	v_mul_f16_e32 v61, 0xb08e, v26
	v_fma_f16 v62, v27, s16, v61
	v_mul_f16_e32 v63, 0xbbad, v31
	v_add_f16_sdwa v62, v18, v62 dst_sel:DWORD dst_unused:UNUSED_PAD src0_sel:WORD_1 src1_sel:DWORD
	v_fma_f16 v64, v32, s12, v63
	v_add_f16_e32 v62, v64, v62
	v_mul_f16_e32 v64, 0x36a6, v33
	v_fma_f16 v65, v34, s17, v64
	v_add_f16_e32 v62, v65, v62
	v_mul_f16_e32 v65, 0x3abb, v35
	;; [unrolled: 3-line block ×4, first 2 shown]
	v_fma_f16 v68, v39, s9, v67
	v_mul_f16_e32 v69, 0x3482, v50
	v_add_f16_e32 v68, v18, v68
	v_fma_f16 v70, v49, s8, v69
	v_add_f16_e32 v68, v70, v68
	v_mul_f16_e32 v70, 0x3b47, v53
	v_fma_f16 v71, v52, s0, v70
	v_add_f16_e32 v68, v71, v68
	v_mul_f16_e32 v71, 0xb853, v56
	;; [unrolled: 3-line block ×4, first 2 shown]
	v_fma_f16 v74, v27, s15, v73
	v_mul_f16_e32 v75, 0xb08e, v31
	v_add_f16_sdwa v74, v18, v74 dst_sel:DWORD dst_unused:UNUSED_PAD src0_sel:WORD_1 src1_sel:DWORD
	v_fma_f16 v76, v32, s13, v75
	v_add_f16_e32 v74, v76, v74
	v_mul_f16_e32 v76, 0x3abb, v33
	v_fma_f16 v77, v34, s18, v76
	v_add_f16_e32 v74, v77, v74
	v_mul_f16_e32 v77, 0xbbad, v35
	v_fma_f16 v78, v36, s19, v77
	v_add_f16_e32 v74, v78, v74
	v_mul_f16_e32 v78, 0x36a6, v37
	v_fma_f16 v79, v38, s17, v78
	v_add_f16_e32 v74, v79, v74
	v_mul_f16_e32 v79, 0xba0c, v40
	v_fma_f16 v80, v39, s1, v79
	v_mul_f16_e32 v81, 0x3beb, v50
	v_add_f16_e32 v80, v18, v80
	v_fma_f16 v82, v49, s9, v81
	v_add_f16_e32 v80, v82, v80
	v_mul_f16_e32 v82, 0xb853, v53
	v_fma_f16 v83, v52, s10, v82
	v_add_f16_e32 v80, v83, v80
	v_mul_f16_e32 v83, 0xb482, v56
	;; [unrolled: 3-line block ×4, first 2 shown]
	v_fma_f16 v86, v27, s19, v85
	v_mul_f16_e32 v87, 0x3abb, v31
	v_add_f16_sdwa v86, v18, v86 dst_sel:DWORD dst_unused:UNUSED_PAD src0_sel:WORD_1 src1_sel:DWORD
	v_fma_f16 v88, v32, s14, v87
	v_add_f16_e32 v86, v88, v86
	v_mul_f16_e32 v88, 0xb93d, v33
	v_fma_f16 v89, v34, s15, v88
	s_mov_b32 s15, 0xba0c
	v_fma_f16 v41, v27, s17, v41
	v_add_f16_sdwa v41, v18, v41 dst_sel:DWORD dst_unused:UNUSED_PAD src0_sel:WORD_1 src1_sel:DWORD
	v_fma_f16 v42, v32, s15, v42
	v_add_f16_e32 v41, v42, v41
	v_fma_f16 v42, v34, s19, v43
	v_add_f16_e32 v41, v42, v41
	;; [unrolled: 2-line block ×4, first 2 shown]
	v_fma_f16 v42, v39, s0, -v46
	v_add_f16_e32 v42, v18, v42
	v_fma_f16 v43, v49, s1, -v51
	v_add_f16_e32 v42, v43, v42
	v_fma_f16 v43, v52, s8, -v54
	v_add_f16_e32 v42, v43, v42
	v_fma_f16 v43, v55, s9, -v57
	v_fma_f16 v85, v27, s12, v85
	v_fma_f16 v73, v27, s15, v73
	;; [unrolled: 1-line block ×3, first 2 shown]
	v_add_f16_e32 v42, v43, v42
	v_fma_f16 v43, v58, s10, -v60
	v_mul_f16_e32 v27, 0xb853, v27
	v_add_f16_e32 v86, v89, v86
	v_mul_f16_e32 v89, 0x36a6, v35
	v_add_f16_sdwa v85, v18, v85 dst_sel:DWORD dst_unused:UNUSED_PAD src0_sel:WORD_1 src1_sel:DWORD
	v_fma_f16 v87, v32, s18, v87
	v_add_f16_sdwa v73, v18, v73 dst_sel:DWORD dst_unused:UNUSED_PAD src0_sel:WORD_1 src1_sel:DWORD
	v_fma_f16 v75, v32, s16, v75
	;; [unrolled: 2-line block ×3, first 2 shown]
	v_add_f16_e32 v42, v43, v42
	v_fma_f16 v43, v26, s10, v27
	v_mul_f16_e32 v32, 0xbb47, v32
	v_fma_f16 v90, v36, s17, v89
	v_add_f16_e32 v85, v87, v85
	v_fma_f16 v87, v34, s15, v88
	v_add_f16_e32 v73, v75, v73
	;; [unrolled: 2-line block ×3, first 2 shown]
	v_fma_f16 v63, v34, s11, v64
	v_add_f16_sdwa v43, v18, v43 dst_sel:DWORD dst_unused:UNUSED_PAD src0_sel:WORD_1 src1_sel:DWORD
	v_fma_f16 v44, v31, s0, v32
	v_mul_f16_e32 v34, 0xbbeb, v34
	v_add_f16_e32 v86, v90, v86
	v_mul_f16_e32 v90, 0xb08e, v37
	v_add_f16_e32 v85, v87, v85
	v_fma_f16 v87, v36, s11, v89
	v_add_f16_e32 v73, v75, v73
	v_fma_f16 v75, v36, s12, v77
	;; [unrolled: 2-line block ×4, first 2 shown]
	v_mul_f16_e32 v36, 0xba0c, v36
	v_fma_f16 v91, v38, s16, v90
	v_add_f16_e32 v85, v87, v85
	v_fma_f16 v87, v38, s13, v90
	v_add_f16_e32 v73, v75, v73
	;; [unrolled: 2-line block ×4, first 2 shown]
	v_fma_f16 v44, v35, s1, v36
	v_mul_f16_e32 v38, 0xb482, v38
	v_add_f16_e32 v21, v18, v21
	v_add_f16_sdwa v0, v18, v0 dst_sel:DWORD dst_unused:UNUSED_PAD src0_sel:WORD_1 src1_sel:DWORD
	v_add_f16_e32 v86, v91, v86
	v_mul_f16_e32 v91, 0xb482, v40
	v_add_f16_e32 v43, v44, v43
	v_fma_f16 v44, v37, s8, v38
	v_mul_f16_e32 v40, 0xb853, v40
	v_add_f16_e32 v1, v21, v1
	v_add_f16_e32 v0, v0, v22
	;; [unrolled: 1-line block ×3, first 2 shown]
	v_fma_f16 v44, v39, s10, -v40
	v_mul_f16_e32 v45, 0xbb47, v50
	v_add_f16_e32 v1, v1, v8
	v_add_f16_e32 v0, v0, v30
	;; [unrolled: 1-line block ×3, first 2 shown]
	v_fma_f16 v46, v49, s0, -v45
	v_add_f16_e32 v1, v1, v9
	v_add_f16_e32 v0, v0, v29
	v_fma_f16 v92, v39, s8, v91
	v_mul_f16_e32 v93, 0x3853, v50
	v_add_f16_e32 v44, v46, v44
	v_mul_f16_e32 v46, 0xbbeb, v53
	v_add_f16_e32 v1, v1, v10
	v_add_f16_e32 v0, v0, v28
	v_fma_f16 v8, v26, s10, -v27
	v_add_f16_e32 v92, v18, v92
	v_fma_f16 v94, v49, s10, v93
	v_fma_f16 v50, v52, s9, -v46
	v_add_f16_e32 v1, v1, v11
	v_add_f16_e32 v0, v0, v25
	v_add_f16_sdwa v8, v18, v8 dst_sel:DWORD dst_unused:UNUSED_PAD src0_sel:WORD_1 src1_sel:DWORD
	v_fma_f16 v9, v31, s0, -v32
	v_add_f16_e32 v92, v94, v92
	v_mul_f16_e32 v94, 0xba0c, v53
	v_add_f16_e32 v73, v75, v73
	v_fma_f16 v75, v39, s1, -v79
	v_add_f16_e32 v61, v63, v61
	v_fma_f16 v63, v39, s9, -v67
	v_add_f16_e32 v44, v50, v44
	v_mul_f16_e32 v50, 0xba0c, v56
	v_add_f16_e32 v1, v1, v12
	v_add_f16_e32 v0, v0, v24
	;; [unrolled: 1-line block ×3, first 2 shown]
	v_fma_f16 v9, v33, s9, -v34
	v_fma_f16 v95, v52, s1, v94
	v_add_f16_e32 v85, v87, v85
	v_fma_f16 v87, v39, s8, -v91
	v_add_f16_e32 v75, v18, v75
	v_fma_f16 v76, v49, s9, -v81
	;; [unrolled: 2-line block ×3, first 2 shown]
	v_fma_f16 v51, v55, s1, -v50
	v_add_f16_e32 v1, v1, v13
	v_add_f16_e32 v0, v0, v23
	;; [unrolled: 1-line block ×3, first 2 shown]
	v_fma_f16 v9, v35, s1, -v36
	v_add_f16_e32 v92, v95, v92
	v_mul_f16_e32 v95, 0x3b47, v56
	v_add_f16_e32 v87, v18, v87
	v_fma_f16 v88, v49, s10, -v93
	v_add_f16_e32 v75, v76, v75
	v_fma_f16 v76, v52, s10, -v82
	;; [unrolled: 2-line block ×3, first 2 shown]
	v_add_f16_e32 v44, v51, v44
	v_mul_f16_e32 v51, 0xb482, v59
	v_add_f16_e32 v1, v1, v14
	v_add_f16_e32 v0, v0, v19
	;; [unrolled: 1-line block ×3, first 2 shown]
	v_fma_f16 v9, v37, s8, -v38
	v_fma_f16 v96, v55, s0, v95
	v_add_f16_e32 v87, v88, v87
	v_fma_f16 v88, v52, s1, -v94
	v_add_f16_e32 v75, v76, v75
	v_fma_f16 v76, v55, s8, -v83
	;; [unrolled: 2-line block ×3, first 2 shown]
	v_fma_f16 v53, v58, s8, -v51
	v_add_f16_e32 v1, v1, v15
	v_add_f16_e32 v0, v0, v20
	;; [unrolled: 1-line block ×3, first 2 shown]
	v_fma_f16 v9, v39, s10, v40
	v_add_f16_e32 v92, v96, v92
	v_mul_f16_e32 v96, 0xbbeb, v59
	v_add_f16_e32 v87, v88, v87
	v_fma_f16 v88, v55, s0, -v95
	v_add_f16_e32 v75, v76, v75
	v_fma_f16 v76, v58, s0, -v84
	;; [unrolled: 2-line block ×3, first 2 shown]
	v_add_f16_e32 v44, v53, v44
	v_add_f16_e32 v9, v18, v9
	v_fma_f16 v10, v49, s0, v45
	v_pack_b32_f16 v0, v1, v0
	v_fma_f16 v97, v58, s9, v96
	v_add_f16_e32 v87, v88, v87
	v_fma_f16 v88, v58, s9, -v96
	v_add_f16_e32 v75, v76, v75
	v_add_f16_e32 v63, v64, v63
	;; [unrolled: 1-line block ×3, first 2 shown]
	v_fma_f16 v10, v52, s9, v46
	ds_write_b32 v17, v0
	v_pack_b32_f16 v0, v44, v43
	v_pack_b32_f16 v1, v42, v41
	v_add_f16_e32 v92, v97, v92
	v_add_f16_e32 v87, v88, v87
	;; [unrolled: 1-line block ×3, first 2 shown]
	v_fma_f16 v10, v55, s1, v50
	ds_write2_b32 v7, v0, v1 offset0:20 offset1:40
	v_pack_b32_f16 v0, v63, v61
	v_pack_b32_f16 v1, v75, v73
	v_add_f16_e32 v9, v10, v9
	v_fma_f16 v10, v58, s8, v51
	ds_write2_b32 v7, v0, v1 offset0:60 offset1:80
	v_pack_b32_f16 v0, v87, v85
	v_pack_b32_f16 v1, v92, v86
	v_add_f16_e32 v9, v10, v9
	ds_write2_b32 v7, v0, v1 offset0:100 offset1:120
	v_pack_b32_f16 v0, v80, v74
	v_pack_b32_f16 v1, v68, v62
	ds_write2_b32 v7, v0, v1 offset0:140 offset1:160
	v_pack_b32_f16 v0, v48, v47
	v_pack_b32_f16 v1, v9, v8
	ds_write2_b32 v7, v0, v1 offset0:180 offset1:200
.LBB0_22:
	s_or_b64 exec, exec, s[4:5]
	s_waitcnt lgkmcnt(0)
	s_barrier
	s_and_saveexec_b64 s[0:1], vcc
	s_cbranch_execz .LBB0_24
; %bb.23:
	v_mul_lo_u32 v7, s3, v4
	v_mul_lo_u32 v5, s2, v5
	v_mad_u64_u32 v[0:1], s[0:1], s2, v4, 0
	v_lshl_add_u32 v10, v6, 2, v16
	v_add3_u32 v1, v1, v5, v7
	ds_read2_b32 v[4:5], v10 offset1:22
	v_lshl_add_u64 v[0:1], v[0:1], 2, s[6:7]
	v_mov_b32_e32 v7, 0
	v_lshl_add_u64 v[0:1], v[2:3], 2, v[0:1]
	v_lshl_add_u64 v[2:3], v[6:7], 2, v[0:1]
	ds_read2_b32 v[8:9], v10 offset0:44 offset1:66
	s_waitcnt lgkmcnt(1)
	global_store_dword v[2:3], v4, off
	v_add_u32_e32 v2, 22, v6
	v_mov_b32_e32 v3, v7
	v_lshl_add_u64 v[2:3], v[2:3], 2, v[0:1]
	global_store_dword v[2:3], v5, off
	v_add_u32_e32 v2, 44, v6
	v_mov_b32_e32 v3, v7
	v_lshl_add_u64 v[2:3], v[2:3], 2, v[0:1]
	ds_read2_b32 v[4:5], v10 offset0:88 offset1:110
	s_waitcnt lgkmcnt(1)
	global_store_dword v[2:3], v8, off
	v_add_u32_e32 v2, 0x42, v6
	v_mov_b32_e32 v3, v7
	v_lshl_add_u64 v[2:3], v[2:3], 2, v[0:1]
	global_store_dword v[2:3], v9, off
	v_add_u32_e32 v2, 0x58, v6
	v_mov_b32_e32 v3, v7
	v_lshl_add_u64 v[2:3], v[2:3], 2, v[0:1]
	ds_read2_b32 v[8:9], v10 offset0:132 offset1:154
	s_waitcnt lgkmcnt(1)
	global_store_dword v[2:3], v4, off
	v_add_u32_e32 v2, 0x6e, v6
	v_mov_b32_e32 v3, v7
	v_lshl_add_u64 v[2:3], v[2:3], 2, v[0:1]
	global_store_dword v[2:3], v5, off
	v_add_u32_e32 v2, 0x84, v6
	v_mov_b32_e32 v3, v7
	v_lshl_add_u64 v[2:3], v[2:3], 2, v[0:1]
	ds_read2_b32 v[4:5], v10 offset0:176 offset1:198
	s_waitcnt lgkmcnt(1)
	global_store_dword v[2:3], v8, off
	v_add_u32_e32 v2, 0x9a, v6
	v_mov_b32_e32 v3, v7
	v_lshl_add_u64 v[2:3], v[2:3], 2, v[0:1]
	global_store_dword v[2:3], v9, off
	v_add_u32_e32 v2, 0xb0, v6
	v_mov_b32_e32 v3, v7
	v_add_u32_e32 v6, 0xc6, v6
	v_lshl_add_u64 v[2:3], v[2:3], 2, v[0:1]
	v_lshl_add_u64 v[0:1], v[6:7], 2, v[0:1]
	s_waitcnt lgkmcnt(0)
	global_store_dword v[2:3], v4, off
	global_store_dword v[0:1], v5, off
.LBB0_24:
	s_endpgm
	.section	.rodata,"a",@progbits
	.p2align	6, 0x0
	.amdhsa_kernel fft_rtc_fwd_len220_factors_10_2_11_wgs_110_tpt_22_half_op_CI_CI_unitstride_sbrr_C2R_dirReg
		.amdhsa_group_segment_fixed_size 0
		.amdhsa_private_segment_fixed_size 0
		.amdhsa_kernarg_size 104
		.amdhsa_user_sgpr_count 2
		.amdhsa_user_sgpr_dispatch_ptr 0
		.amdhsa_user_sgpr_queue_ptr 0
		.amdhsa_user_sgpr_kernarg_segment_ptr 1
		.amdhsa_user_sgpr_dispatch_id 0
		.amdhsa_user_sgpr_kernarg_preload_length 0
		.amdhsa_user_sgpr_kernarg_preload_offset 0
		.amdhsa_user_sgpr_private_segment_size 0
		.amdhsa_uses_dynamic_stack 0
		.amdhsa_enable_private_segment 0
		.amdhsa_system_sgpr_workgroup_id_x 1
		.amdhsa_system_sgpr_workgroup_id_y 0
		.amdhsa_system_sgpr_workgroup_id_z 0
		.amdhsa_system_sgpr_workgroup_info 0
		.amdhsa_system_vgpr_workitem_id 0
		.amdhsa_next_free_vgpr 98
		.amdhsa_next_free_sgpr 28
		.amdhsa_accum_offset 100
		.amdhsa_reserve_vcc 1
		.amdhsa_float_round_mode_32 0
		.amdhsa_float_round_mode_16_64 0
		.amdhsa_float_denorm_mode_32 3
		.amdhsa_float_denorm_mode_16_64 3
		.amdhsa_dx10_clamp 1
		.amdhsa_ieee_mode 1
		.amdhsa_fp16_overflow 0
		.amdhsa_tg_split 0
		.amdhsa_exception_fp_ieee_invalid_op 0
		.amdhsa_exception_fp_denorm_src 0
		.amdhsa_exception_fp_ieee_div_zero 0
		.amdhsa_exception_fp_ieee_overflow 0
		.amdhsa_exception_fp_ieee_underflow 0
		.amdhsa_exception_fp_ieee_inexact 0
		.amdhsa_exception_int_div_zero 0
	.end_amdhsa_kernel
	.text
.Lfunc_end0:
	.size	fft_rtc_fwd_len220_factors_10_2_11_wgs_110_tpt_22_half_op_CI_CI_unitstride_sbrr_C2R_dirReg, .Lfunc_end0-fft_rtc_fwd_len220_factors_10_2_11_wgs_110_tpt_22_half_op_CI_CI_unitstride_sbrr_C2R_dirReg
                                        ; -- End function
	.section	.AMDGPU.csdata,"",@progbits
; Kernel info:
; codeLenInByte = 7392
; NumSgprs: 34
; NumVgprs: 98
; NumAgprs: 0
; TotalNumVgprs: 98
; ScratchSize: 0
; MemoryBound: 0
; FloatMode: 240
; IeeeMode: 1
; LDSByteSize: 0 bytes/workgroup (compile time only)
; SGPRBlocks: 4
; VGPRBlocks: 12
; NumSGPRsForWavesPerEU: 34
; NumVGPRsForWavesPerEU: 98
; AccumOffset: 100
; Occupancy: 4
; WaveLimiterHint : 1
; COMPUTE_PGM_RSRC2:SCRATCH_EN: 0
; COMPUTE_PGM_RSRC2:USER_SGPR: 2
; COMPUTE_PGM_RSRC2:TRAP_HANDLER: 0
; COMPUTE_PGM_RSRC2:TGID_X_EN: 1
; COMPUTE_PGM_RSRC2:TGID_Y_EN: 0
; COMPUTE_PGM_RSRC2:TGID_Z_EN: 0
; COMPUTE_PGM_RSRC2:TIDIG_COMP_CNT: 0
; COMPUTE_PGM_RSRC3_GFX90A:ACCUM_OFFSET: 24
; COMPUTE_PGM_RSRC3_GFX90A:TG_SPLIT: 0
	.text
	.p2alignl 6, 3212836864
	.fill 256, 4, 3212836864
	.type	__hip_cuid_42fc1eec1686ac24,@object ; @__hip_cuid_42fc1eec1686ac24
	.section	.bss,"aw",@nobits
	.globl	__hip_cuid_42fc1eec1686ac24
__hip_cuid_42fc1eec1686ac24:
	.byte	0                               ; 0x0
	.size	__hip_cuid_42fc1eec1686ac24, 1

	.ident	"AMD clang version 19.0.0git (https://github.com/RadeonOpenCompute/llvm-project roc-6.4.0 25133 c7fe45cf4b819c5991fe208aaa96edf142730f1d)"
	.section	".note.GNU-stack","",@progbits
	.addrsig
	.addrsig_sym __hip_cuid_42fc1eec1686ac24
	.amdgpu_metadata
---
amdhsa.kernels:
  - .agpr_count:     0
    .args:
      - .actual_access:  read_only
        .address_space:  global
        .offset:         0
        .size:           8
        .value_kind:     global_buffer
      - .offset:         8
        .size:           8
        .value_kind:     by_value
      - .actual_access:  read_only
        .address_space:  global
        .offset:         16
        .size:           8
        .value_kind:     global_buffer
      - .actual_access:  read_only
        .address_space:  global
        .offset:         24
        .size:           8
        .value_kind:     global_buffer
      - .actual_access:  read_only
        .address_space:  global
        .offset:         32
        .size:           8
        .value_kind:     global_buffer
      - .offset:         40
        .size:           8
        .value_kind:     by_value
      - .actual_access:  read_only
        .address_space:  global
        .offset:         48
        .size:           8
        .value_kind:     global_buffer
      - .actual_access:  read_only
        .address_space:  global
        .offset:         56
        .size:           8
        .value_kind:     global_buffer
      - .offset:         64
        .size:           4
        .value_kind:     by_value
      - .actual_access:  read_only
        .address_space:  global
        .offset:         72
        .size:           8
        .value_kind:     global_buffer
      - .actual_access:  read_only
        .address_space:  global
        .offset:         80
        .size:           8
        .value_kind:     global_buffer
      - .actual_access:  read_only
        .address_space:  global
        .offset:         88
        .size:           8
        .value_kind:     global_buffer
      - .actual_access:  write_only
        .address_space:  global
        .offset:         96
        .size:           8
        .value_kind:     global_buffer
    .group_segment_fixed_size: 0
    .kernarg_segment_align: 8
    .kernarg_segment_size: 104
    .language:       OpenCL C
    .language_version:
      - 2
      - 0
    .max_flat_workgroup_size: 110
    .name:           fft_rtc_fwd_len220_factors_10_2_11_wgs_110_tpt_22_half_op_CI_CI_unitstride_sbrr_C2R_dirReg
    .private_segment_fixed_size: 0
    .sgpr_count:     34
    .sgpr_spill_count: 0
    .symbol:         fft_rtc_fwd_len220_factors_10_2_11_wgs_110_tpt_22_half_op_CI_CI_unitstride_sbrr_C2R_dirReg.kd
    .uniform_work_group_size: 1
    .uses_dynamic_stack: false
    .vgpr_count:     98
    .vgpr_spill_count: 0
    .wavefront_size: 64
amdhsa.target:   amdgcn-amd-amdhsa--gfx950
amdhsa.version:
  - 1
  - 2
...

	.end_amdgpu_metadata
